;; amdgpu-corpus repo=ROCm/rocFFT kind=compiled arch=gfx906 opt=O3
	.text
	.amdgcn_target "amdgcn-amd-amdhsa--gfx906"
	.amdhsa_code_object_version 6
	.protected	fft_rtc_back_len2048_factors_16_16_8_wgs_256_tpt_256_halfLds_sp_ip_CI_sbrr_dirReg ; -- Begin function fft_rtc_back_len2048_factors_16_16_8_wgs_256_tpt_256_halfLds_sp_ip_CI_sbrr_dirReg
	.globl	fft_rtc_back_len2048_factors_16_16_8_wgs_256_tpt_256_halfLds_sp_ip_CI_sbrr_dirReg
	.p2align	8
	.type	fft_rtc_back_len2048_factors_16_16_8_wgs_256_tpt_256_halfLds_sp_ip_CI_sbrr_dirReg,@function
fft_rtc_back_len2048_factors_16_16_8_wgs_256_tpt_256_halfLds_sp_ip_CI_sbrr_dirReg: ; @fft_rtc_back_len2048_factors_16_16_8_wgs_256_tpt_256_halfLds_sp_ip_CI_sbrr_dirReg
; %bb.0:
	s_load_dwordx2 s[14:15], s[4:5], 0x18
	s_load_dwordx4 s[8:11], s[4:5], 0x0
	s_load_dwordx2 s[12:13], s[4:5], 0x50
	v_mov_b32_e32 v3, 0
	v_mov_b32_e32 v1, 0
	s_waitcnt lgkmcnt(0)
	s_load_dwordx2 s[2:3], s[14:15], 0x0
	v_cmp_lt_u64_e64 s[0:1], s[10:11], 2
	v_mov_b32_e32 v5, s6
	v_mov_b32_e32 v6, v3
	s_and_b64 vcc, exec, s[0:1]
	v_mov_b32_e32 v2, 0
	s_cbranch_vccnz .LBB0_8
; %bb.1:
	s_load_dwordx2 s[0:1], s[4:5], 0x10
	s_add_u32 s6, s14, 8
	s_addc_u32 s7, s15, 0
	v_mov_b32_e32 v1, 0
	v_mov_b32_e32 v2, 0
	s_waitcnt lgkmcnt(0)
	s_add_u32 s16, s0, 8
	s_addc_u32 s17, s1, 0
	s_mov_b64 s[18:19], 1
.LBB0_2:                                ; =>This Inner Loop Header: Depth=1
	s_load_dwordx2 s[20:21], s[16:17], 0x0
                                        ; implicit-def: $vgpr7_vgpr8
	s_waitcnt lgkmcnt(0)
	v_or_b32_e32 v4, s21, v6
	v_cmp_ne_u64_e32 vcc, 0, v[3:4]
	s_and_saveexec_b64 s[0:1], vcc
	s_xor_b64 s[22:23], exec, s[0:1]
	s_cbranch_execz .LBB0_4
; %bb.3:                                ;   in Loop: Header=BB0_2 Depth=1
	v_cvt_f32_u32_e32 v4, s20
	v_cvt_f32_u32_e32 v7, s21
	s_sub_u32 s0, 0, s20
	s_subb_u32 s1, 0, s21
	v_mac_f32_e32 v4, 0x4f800000, v7
	v_rcp_f32_e32 v4, v4
	v_mul_f32_e32 v4, 0x5f7ffffc, v4
	v_mul_f32_e32 v7, 0x2f800000, v4
	v_trunc_f32_e32 v7, v7
	v_mac_f32_e32 v4, 0xcf800000, v7
	v_cvt_u32_f32_e32 v7, v7
	v_cvt_u32_f32_e32 v4, v4
	v_mul_lo_u32 v8, s0, v7
	v_mul_hi_u32 v9, s0, v4
	v_mul_lo_u32 v11, s1, v4
	v_mul_lo_u32 v10, s0, v4
	v_add_u32_e32 v8, v9, v8
	v_add_u32_e32 v8, v8, v11
	v_mul_hi_u32 v9, v4, v10
	v_mul_lo_u32 v11, v4, v8
	v_mul_hi_u32 v13, v4, v8
	v_mul_hi_u32 v12, v7, v10
	v_mul_lo_u32 v10, v7, v10
	v_mul_hi_u32 v14, v7, v8
	v_add_co_u32_e32 v9, vcc, v9, v11
	v_addc_co_u32_e32 v11, vcc, 0, v13, vcc
	v_mul_lo_u32 v8, v7, v8
	v_add_co_u32_e32 v9, vcc, v9, v10
	v_addc_co_u32_e32 v9, vcc, v11, v12, vcc
	v_addc_co_u32_e32 v10, vcc, 0, v14, vcc
	v_add_co_u32_e32 v8, vcc, v9, v8
	v_addc_co_u32_e32 v9, vcc, 0, v10, vcc
	v_add_co_u32_e32 v4, vcc, v4, v8
	v_addc_co_u32_e32 v7, vcc, v7, v9, vcc
	v_mul_lo_u32 v8, s0, v7
	v_mul_hi_u32 v9, s0, v4
	v_mul_lo_u32 v10, s1, v4
	v_mul_lo_u32 v11, s0, v4
	v_add_u32_e32 v8, v9, v8
	v_add_u32_e32 v8, v8, v10
	v_mul_lo_u32 v12, v4, v8
	v_mul_hi_u32 v13, v4, v11
	v_mul_hi_u32 v14, v4, v8
	;; [unrolled: 1-line block ×3, first 2 shown]
	v_mul_lo_u32 v11, v7, v11
	v_mul_hi_u32 v9, v7, v8
	v_add_co_u32_e32 v12, vcc, v13, v12
	v_addc_co_u32_e32 v13, vcc, 0, v14, vcc
	v_mul_lo_u32 v8, v7, v8
	v_add_co_u32_e32 v11, vcc, v12, v11
	v_addc_co_u32_e32 v10, vcc, v13, v10, vcc
	v_addc_co_u32_e32 v9, vcc, 0, v9, vcc
	v_add_co_u32_e32 v8, vcc, v10, v8
	v_addc_co_u32_e32 v9, vcc, 0, v9, vcc
	v_add_co_u32_e32 v4, vcc, v4, v8
	v_addc_co_u32_e32 v9, vcc, v7, v9, vcc
	v_mad_u64_u32 v[7:8], s[0:1], v5, v9, 0
	v_mul_hi_u32 v10, v5, v4
	v_add_co_u32_e32 v11, vcc, v10, v7
	v_addc_co_u32_e32 v12, vcc, 0, v8, vcc
	v_mad_u64_u32 v[7:8], s[0:1], v6, v4, 0
	v_mad_u64_u32 v[9:10], s[0:1], v6, v9, 0
	v_add_co_u32_e32 v4, vcc, v11, v7
	v_addc_co_u32_e32 v4, vcc, v12, v8, vcc
	v_addc_co_u32_e32 v7, vcc, 0, v10, vcc
	v_add_co_u32_e32 v4, vcc, v4, v9
	v_addc_co_u32_e32 v9, vcc, 0, v7, vcc
	v_mul_lo_u32 v10, s21, v4
	v_mul_lo_u32 v11, s20, v9
	v_mad_u64_u32 v[7:8], s[0:1], s20, v4, 0
	v_add3_u32 v8, v8, v11, v10
	v_sub_u32_e32 v10, v6, v8
	v_mov_b32_e32 v11, s21
	v_sub_co_u32_e32 v7, vcc, v5, v7
	v_subb_co_u32_e64 v10, s[0:1], v10, v11, vcc
	v_subrev_co_u32_e64 v11, s[0:1], s20, v7
	v_subbrev_co_u32_e64 v10, s[0:1], 0, v10, s[0:1]
	v_cmp_le_u32_e64 s[0:1], s21, v10
	v_cndmask_b32_e64 v12, 0, -1, s[0:1]
	v_cmp_le_u32_e64 s[0:1], s20, v11
	v_cndmask_b32_e64 v11, 0, -1, s[0:1]
	v_cmp_eq_u32_e64 s[0:1], s21, v10
	v_cndmask_b32_e64 v10, v12, v11, s[0:1]
	v_add_co_u32_e64 v11, s[0:1], 2, v4
	v_addc_co_u32_e64 v12, s[0:1], 0, v9, s[0:1]
	v_add_co_u32_e64 v13, s[0:1], 1, v4
	v_addc_co_u32_e64 v14, s[0:1], 0, v9, s[0:1]
	v_subb_co_u32_e32 v8, vcc, v6, v8, vcc
	v_cmp_ne_u32_e64 s[0:1], 0, v10
	v_cmp_le_u32_e32 vcc, s21, v8
	v_cndmask_b32_e64 v10, v14, v12, s[0:1]
	v_cndmask_b32_e64 v12, 0, -1, vcc
	v_cmp_le_u32_e32 vcc, s20, v7
	v_cndmask_b32_e64 v7, 0, -1, vcc
	v_cmp_eq_u32_e32 vcc, s21, v8
	v_cndmask_b32_e32 v7, v12, v7, vcc
	v_cmp_ne_u32_e32 vcc, 0, v7
	v_cndmask_b32_e64 v7, v13, v11, s[0:1]
	v_cndmask_b32_e32 v8, v9, v10, vcc
	v_cndmask_b32_e32 v7, v4, v7, vcc
.LBB0_4:                                ;   in Loop: Header=BB0_2 Depth=1
	s_andn2_saveexec_b64 s[0:1], s[22:23]
	s_cbranch_execz .LBB0_6
; %bb.5:                                ;   in Loop: Header=BB0_2 Depth=1
	v_cvt_f32_u32_e32 v4, s20
	s_sub_i32 s22, 0, s20
	v_rcp_iflag_f32_e32 v4, v4
	v_mul_f32_e32 v4, 0x4f7ffffe, v4
	v_cvt_u32_f32_e32 v4, v4
	v_mul_lo_u32 v7, s22, v4
	v_mul_hi_u32 v7, v4, v7
	v_add_u32_e32 v4, v4, v7
	v_mul_hi_u32 v4, v5, v4
	v_mul_lo_u32 v7, v4, s20
	v_add_u32_e32 v8, 1, v4
	v_sub_u32_e32 v7, v5, v7
	v_subrev_u32_e32 v9, s20, v7
	v_cmp_le_u32_e32 vcc, s20, v7
	v_cndmask_b32_e32 v7, v7, v9, vcc
	v_cndmask_b32_e32 v4, v4, v8, vcc
	v_add_u32_e32 v8, 1, v4
	v_cmp_le_u32_e32 vcc, s20, v7
	v_cndmask_b32_e32 v7, v4, v8, vcc
	v_mov_b32_e32 v8, v3
.LBB0_6:                                ;   in Loop: Header=BB0_2 Depth=1
	s_or_b64 exec, exec, s[0:1]
	v_mul_lo_u32 v4, v8, s20
	v_mul_lo_u32 v11, v7, s21
	v_mad_u64_u32 v[9:10], s[0:1], v7, s20, 0
	s_load_dwordx2 s[0:1], s[6:7], 0x0
	s_add_u32 s18, s18, 1
	v_add3_u32 v4, v10, v11, v4
	v_sub_co_u32_e32 v5, vcc, v5, v9
	v_subb_co_u32_e32 v4, vcc, v6, v4, vcc
	s_waitcnt lgkmcnt(0)
	v_mul_lo_u32 v4, s0, v4
	v_mul_lo_u32 v6, s1, v5
	v_mad_u64_u32 v[1:2], s[0:1], s0, v5, v[1:2]
	s_addc_u32 s19, s19, 0
	s_add_u32 s6, s6, 8
	v_add3_u32 v2, v6, v2, v4
	v_mov_b32_e32 v4, s10
	v_mov_b32_e32 v5, s11
	s_addc_u32 s7, s7, 0
	v_cmp_ge_u64_e32 vcc, s[18:19], v[4:5]
	s_add_u32 s16, s16, 8
	s_addc_u32 s17, s17, 0
	s_cbranch_vccnz .LBB0_9
; %bb.7:                                ;   in Loop: Header=BB0_2 Depth=1
	v_mov_b32_e32 v5, v7
	v_mov_b32_e32 v6, v8
	s_branch .LBB0_2
.LBB0_8:
	v_mov_b32_e32 v8, v6
	v_mov_b32_e32 v7, v5
.LBB0_9:
	s_lshl_b64 s[0:1], s[10:11], 3
	s_add_u32 s0, s14, s0
	s_addc_u32 s1, s15, s1
	s_load_dwordx2 s[6:7], s[0:1], 0x0
	s_load_dwordx2 s[10:11], s[4:5], 0x20
	v_mov_b32_e32 v39, 0
	v_mov_b32_e32 v15, 0
	;; [unrolled: 1-line block ×3, first 2 shown]
	s_waitcnt lgkmcnt(0)
	v_mul_lo_u32 v3, s6, v8
	v_mul_lo_u32 v4, s7, v7
	v_mad_u64_u32 v[5:6], s[0:1], s6, v7, v[1:2]
	v_cmp_gt_u64_e32 vcc, s[10:11], v[7:8]
	v_mov_b32_e32 v2, 0
	v_add3_u32 v6, v4, v6, v3
	v_mov_b32_e32 v1, 0
	v_mov_b32_e32 v19, 0
	;; [unrolled: 1-line block ×13, first 2 shown]
                                        ; implicit-def: $vgpr11
                                        ; implicit-def: $vgpr29
                                        ; implicit-def: $vgpr33
                                        ; implicit-def: $vgpr27
                                        ; implicit-def: $vgpr35
                                        ; implicit-def: $vgpr23
                                        ; implicit-def: $vgpr31
                                        ; implicit-def: $vgpr25
	s_and_saveexec_b64 s[4:5], vcc
	s_cbranch_execz .LBB0_13
; %bb.10:
	s_movk_i32 s0, 0x80
	v_cmp_gt_u32_e64 s[0:1], s0, v0
	v_mov_b32_e32 v7, 0
	v_mov_b32_e32 v8, 0
	;; [unrolled: 1-line block ×16, first 2 shown]
                                        ; implicit-def: $vgpr24
                                        ; implicit-def: $vgpr30
                                        ; implicit-def: $vgpr22
                                        ; implicit-def: $vgpr34
                                        ; implicit-def: $vgpr26
                                        ; implicit-def: $vgpr32
                                        ; implicit-def: $vgpr28
                                        ; implicit-def: $vgpr10
	s_and_saveexec_b64 s[6:7], s[0:1]
	s_cbranch_execz .LBB0_12
; %bb.11:
	v_mad_u64_u32 v[1:2], s[0:1], s2, v0, 0
	v_or_b32_e32 v10, 0x80, v0
	v_mad_u64_u32 v[7:8], s[0:1], s2, v10, 0
	v_mad_u64_u32 v[2:3], s[0:1], s3, v0, v[2:3]
	v_lshlrev_b64 v[3:4], 3, v[5:6]
	v_mov_b32_e32 v9, s13
	v_add_co_u32_e64 v11, s[0:1], s12, v3
	v_mov_b32_e32 v3, v8
	v_addc_co_u32_e64 v12, s[0:1], v9, v4, s[0:1]
	v_mad_u64_u32 v[3:4], s[0:1], s3, v10, v[3:4]
	v_or_b32_e32 v4, 0x100, v0
	v_mad_u64_u32 v[9:10], s[0:1], s2, v4, 0
	v_lshlrev_b64 v[1:2], 3, v[1:2]
	v_mov_b32_e32 v8, v3
	v_add_co_u32_e64 v24, s[0:1], v11, v1
	v_mov_b32_e32 v3, v10
	v_addc_co_u32_e64 v25, s[0:1], v12, v2, s[0:1]
	v_mad_u64_u32 v[3:4], s[0:1], s3, v4, v[3:4]
	v_or_b32_e32 v4, 0x180, v0
	v_lshlrev_b64 v[1:2], 3, v[7:8]
	v_mad_u64_u32 v[7:8], s[0:1], s2, v4, 0
	v_add_co_u32_e64 v30, s[0:1], v11, v1
	v_mov_b32_e32 v10, v3
	v_mov_b32_e32 v3, v8
	v_addc_co_u32_e64 v31, s[0:1], v12, v2, s[0:1]
	v_mad_u64_u32 v[3:4], s[0:1], s3, v4, v[3:4]
	v_or_b32_e32 v4, 0x200, v0
	v_lshlrev_b64 v[1:2], 3, v[9:10]
	v_mad_u64_u32 v[9:10], s[0:1], s2, v4, 0
	v_add_co_u32_e64 v36, s[0:1], v11, v1
	v_mov_b32_e32 v8, v3
	;; [unrolled: 8-line block ×13, first 2 shown]
	v_mov_b32_e32 v3, v8
	v_addc_co_u32_e64 v59, s[0:1], v12, v2, s[0:1]
	v_mad_u64_u32 v[3:4], s[0:1], s3, v4, v[3:4]
	v_lshlrev_b64 v[1:2], 3, v[9:10]
	v_add_co_u32_e64 v60, s[0:1], v11, v1
	v_mov_b32_e32 v8, v3
	v_addc_co_u32_e64 v61, s[0:1], v12, v2, s[0:1]
	v_lshlrev_b64 v[1:2], 3, v[7:8]
	v_add_co_u32_e64 v62, s[0:1], v11, v1
	v_addc_co_u32_e64 v63, s[0:1], v12, v2, s[0:1]
	global_load_dwordx2 v[1:2], v[24:25], off
	global_load_dwordx2 v[14:15], v[30:31], off
	;; [unrolled: 1-line block ×14, first 2 shown]
                                        ; kill: killed $vgpr30 killed $vgpr31
                                        ; kill: killed $vgpr58 killed $vgpr59
                                        ; kill: killed $vgpr48 killed $vgpr49
                                        ; kill: killed $vgpr38 killed $vgpr39
                                        ; kill: killed $vgpr52 killed $vgpr53
                                        ; kill: killed $vgpr42 killed $vgpr43
                                        ; kill: killed $vgpr24 killed $vgpr25
                                        ; kill: killed $vgpr56 killed $vgpr57
                                        ; kill: killed $vgpr46 killed $vgpr47
                                        ; kill: killed $vgpr36 killed $vgpr37
                                        ; kill: killed $vgpr50 killed $vgpr51
                                        ; kill: killed $vgpr40 killed $vgpr41
                                        ; kill: killed $vgpr54 killed $vgpr55
                                        ; kill: killed $vgpr44 killed $vgpr45
	global_load_dwordx2 v[30:31], v[60:61], off
	global_load_dwordx2 v[24:25], v[62:63], off
.LBB0_12:
	s_or_b64 exec, exec, s[6:7]
	v_mov_b32_e32 v39, v0
.LBB0_13:
	s_or_b64 exec, exec, s[4:5]
	s_waitcnt vmcnt(6)
	v_sub_f32_e32 v28, v14, v28
	v_sub_f32_e32 v29, v15, v29
	s_waitcnt vmcnt(2)
	v_sub_f32_e32 v22, v16, v22
	v_sub_f32_e32 v23, v17, v23
	;; [unrolled: 1-line block ×3, first 2 shown]
	v_fma_f32 v16, v16, 2.0, -v22
	v_fma_f32 v17, v17, 2.0, -v23
	;; [unrolled: 1-line block ×3, first 2 shown]
	s_waitcnt vmcnt(0)
	v_sub_f32_e32 v13, v7, v24
	v_sub_f32_e32 v24, v8, v25
	v_add_f32_e32 v23, v28, v23
	v_sub_f32_e32 v22, v29, v22
	v_fma_f32 v14, v14, 2.0, -v28
	v_sub_f32_e32 v26, v12, v26
	v_fma_f32 v7, v7, 2.0, -v13
	v_fma_f32 v25, v8, 2.0, -v24
	;; [unrolled: 1-line block ×4, first 2 shown]
	v_sub_f32_e32 v13, v27, v13
	v_sub_f32_e32 v40, v19, v33
	v_add_f32_e32 v24, v26, v24
	v_fma_f32 v27, v27, 2.0, -v13
	v_mov_b32_e32 v33, v28
	v_sub_f32_e32 v9, v1, v10
	v_sub_f32_e32 v35, v4, v35
	;; [unrolled: 1-line block ×3, first 2 shown]
	v_fma_f32 v32, v19, 2.0, -v40
	v_sub_f32_e32 v19, v20, v30
	v_sub_f32_e32 v30, v21, v31
	v_fma_f32 v12, v12, 2.0, -v26
	v_fma_f32 v26, v26, 2.0, -v24
	v_mov_b32_e32 v31, v8
	v_fmac_f32_e32 v33, 0xbf3504f3, v27
	v_sub_f32_e32 v34, v3, v34
	v_fmac_f32_e32 v31, 0xbf3504f3, v26
	v_fmac_f32_e32 v33, 0xbf3504f3, v26
	v_mov_b32_e32 v42, v22
	v_add_f32_e32 v26, v9, v35
	v_fma_f32 v18, v18, 2.0, -v10
	v_fma_f32 v20, v20, 2.0, -v19
	v_mov_b32_e32 v41, v23
	v_fmac_f32_e32 v42, 0x3f3504f3, v13
	v_fma_f32 v1, v1, 2.0, -v9
	v_fma_f32 v3, v3, 2.0, -v34
	;; [unrolled: 1-line block ×3, first 2 shown]
	v_add_f32_e32 v36, v10, v30
	v_fmac_f32_e32 v41, 0x3f3504f3, v24
	v_fmac_f32_e32 v42, 0xbf3504f3, v24
	v_sub_f32_e32 v24, v1, v3
	v_sub_f32_e32 v3, v18, v20
	;; [unrolled: 1-line block ×3, first 2 shown]
	v_fma_f32 v38, v10, 2.0, -v36
	v_mov_b32_e32 v20, v9
	v_fma_f32 v40, v40, 2.0, -v37
	v_fmac_f32_e32 v20, 0xbf3504f3, v38
	v_sub_f32_e32 v16, v14, v16
	v_fmac_f32_e32 v20, 0x3f3504f3, v40
	v_fmac_f32_e32 v31, 0x3f3504f3, v27
	v_fmac_f32_e32 v41, 0x3f3504f3, v13
	v_fma_f32 v1, v1, 2.0, -v24
	v_fma_f32 v13, v18, 2.0, -v3
	;; [unrolled: 1-line block ×3, first 2 shown]
	v_sub_f32_e32 v18, v12, v7
	v_fma_f32 v14, v9, 2.0, -v20
	v_fma_f32 v7, v12, 2.0, -v18
	v_sub_f32_e32 v19, v1, v13
	v_fma_f32 v12, v8, 2.0, -v31
	v_mov_b32_e32 v8, v14
	v_fma_f32 v13, v1, 2.0, -v19
	v_sub_f32_e32 v1, v10, v7
	v_fma_f32 v27, v28, 2.0, -v33
	v_fmac_f32_e32 v8, 0xbf6c835e, v12
	v_fma_f32 v21, v21, 2.0, -v30
	v_fma_f32 v15, v15, 2.0, -v29
	;; [unrolled: 1-line block ×3, first 2 shown]
	v_fmac_f32_e32 v8, 0x3ec3ef15, v27
	v_mov_b32_e32 v47, v26
	v_sub_f32_e32 v7, v13, v7
	v_fma_f32 v10, v14, 2.0, -v8
	v_sub_f32_e32 v14, v32, v21
	v_sub_f32_e32 v17, v15, v17
	v_fmac_f32_e32 v47, 0x3f3504f3, v36
	v_fma_f32 v9, v13, 2.0, -v7
	v_fma_f32 v13, v15, 2.0, -v17
	v_sub_f32_e32 v15, v43, v25
	v_add_f32_e32 v44, v24, v14
	v_fmac_f32_e32 v47, 0x3f3504f3, v37
	v_fma_f32 v25, v43, 2.0, -v15
	v_fma_f32 v21, v24, 2.0, -v44
	;; [unrolled: 1-line block ×3, first 2 shown]
	v_add_f32_e32 v43, v16, v15
	v_sub_f32_e32 v46, v17, v18
	v_fma_f32 v45, v16, 2.0, -v43
	v_fma_f32 v29, v23, 2.0, -v41
	v_mov_b32_e32 v16, v24
	v_mov_b32_e32 v18, v20
	v_fma_f32 v30, v22, 2.0, -v42
	v_fmac_f32_e32 v16, 0xbec3ef15, v29
	v_sub_f32_e32 v28, v13, v25
	v_fmac_f32_e32 v18, 0x3ec3ef15, v31
	v_fma_f32 v50, v17, 2.0, -v46
	v_fmac_f32_e32 v16, 0x3f6c835e, v30
	v_add_f32_e32 v17, v19, v28
	v_fmac_f32_e32 v18, 0x3f6c835e, v33
	v_mov_b32_e32 v15, v21
	v_fma_f32 v22, v24, 2.0, -v16
	v_fma_f32 v23, v19, 2.0, -v17
	;; [unrolled: 1-line block ×3, first 2 shown]
	v_mov_b32_e32 v19, v44
	v_mov_b32_e32 v20, v47
	v_fmac_f32_e32 v15, 0xbf3504f3, v45
	v_fmac_f32_e32 v19, 0x3f3504f3, v43
	;; [unrolled: 1-line block ×6, first 2 shown]
	s_movk_i32 s0, 0x80
	v_fma_f32 v21, v21, 2.0, -v15
	v_fma_f32 v25, v44, 2.0, -v19
	;; [unrolled: 1-line block ×3, first 2 shown]
	v_cmp_gt_u32_e64 s[0:1], s0, v0
	v_lshl_add_u32 v44, v0, 6, 0
	s_and_saveexec_b64 s[4:5], s[0:1]
	s_cbranch_execz .LBB0_15
; %bb.14:
	ds_write2_b64 v44, v[9:10], v[21:22] offset1:1
	ds_write2_b64 v44, v[23:24], v[25:26] offset0:2 offset1:3
	ds_write2_b64 v44, v[7:8], v[15:16] offset0:4 offset1:5
	;; [unrolled: 1-line block ×3, first 2 shown]
.LBB0_15:
	s_or_b64 exec, exec, s[4:5]
	v_mul_f32_e32 v48, 0x3f3504f3, v38
	v_mul_f32_e32 v49, 0x3f3504f3, v40
	;; [unrolled: 1-line block ×8, first 2 shown]
	v_lshl_add_u32 v40, v0, 2, 0
	v_lshlrev_b32_e32 v43, 2, v0
	s_waitcnt lgkmcnt(0)
	s_barrier
	s_and_saveexec_b64 s[4:5], s[0:1]
	s_cbranch_execz .LBB0_17
; %bb.16:
	v_add_u32_e32 v7, 0, v43
	ds_read2st64_b32 v[9:10], v40 offset1:2
	ds_read2st64_b32 v[21:22], v40 offset0:4 offset1:6
	ds_read2st64_b32 v[23:24], v40 offset0:8 offset1:10
	;; [unrolled: 1-line block ×3, first 2 shown]
	v_or_b32_e32 v7, 0xe00, v43
	v_or_b32_e32 v20, 0x1e00, v43
	v_add_u32_e32 v19, 0, v7
	ds_read2st64_b32 v[7:8], v40 offset0:16 offset1:18
	ds_read2st64_b32 v[15:16], v40 offset0:20 offset1:22
	;; [unrolled: 1-line block ×3, first 2 shown]
	v_add_u32_e32 v20, 0, v20
	ds_read_b32 v26, v19
	ds_read_b32 v20, v20
	s_waitcnt lgkmcnt(5)
	v_mov_b32_e32 v25, v50
	v_mov_b32_e32 v19, v51
.LBB0_17:
	s_or_b64 exec, exec, s[4:5]
	v_sub_f32_e32 v11, v2, v11
	v_fma_f32 v2, v2, 2.0, -v11
	v_fma_f32 v4, v4, 2.0, -v35
	v_sub_f32_e32 v4, v2, v4
	v_sub_f32_e32 v34, v11, v34
	v_fma_f32 v2, v2, 2.0, -v4
	v_fma_f32 v11, v11, 2.0, -v34
	;; [unrolled: 1-line block ×3, first 2 shown]
	v_sub_f32_e32 v32, v2, v14
	v_sub_f32_e32 v14, v11, v49
	;; [unrolled: 1-line block ×3, first 2 shown]
	v_fma_f32 v35, v11, 2.0, -v48
	v_add_f32_e32 v11, v34, v47
	v_sub_f32_e32 v47, v11, v38
	v_fma_f32 v34, v34, 2.0, -v47
	v_fma_f32 v11, v13, 2.0, -v28
	v_mov_b32_e32 v28, v34
	v_fma_f32 v2, v2, 2.0, -v32
	v_sub_f32_e32 v3, v4, v3
	v_fmac_f32_e32 v28, 0xbec3ef15, v30
	v_fma_f32 v4, v4, 2.0, -v3
	v_sub_f32_e32 v13, v2, v11
	v_fmac_f32_e32 v28, 0xbf6c835e, v29
	v_sub_f32_e32 v29, v32, v1
	v_fma_f32 v11, v2, 2.0, -v13
	v_mov_b32_e32 v14, v35
	v_sub_f32_e32 v2, v4, v37
	v_fma_f32 v37, v32, 2.0, -v29
	v_mov_b32_e32 v30, v48
	v_mov_b32_e32 v32, v47
	v_fmac_f32_e32 v14, 0xbf6c835e, v27
	v_fmac_f32_e32 v30, 0x3ec3ef15, v33
	v_add_f32_e32 v1, v3, v46
	v_fmac_f32_e32 v32, 0x3f6c835e, v42
	v_fmac_f32_e32 v14, 0xbec3ef15, v12
	v_sub_f32_e32 v27, v2, v36
	v_fmac_f32_e32 v30, 0xbf6c835e, v31
	v_sub_f32_e32 v31, v1, v45
	v_fmac_f32_e32 v32, 0xbec3ef15, v41
	v_fma_f32 v12, v35, 2.0, -v14
	v_fma_f32 v35, v4, 2.0, -v27
	;; [unrolled: 1-line block ×6, first 2 shown]
	s_waitcnt lgkmcnt(0)
	s_barrier
	s_and_saveexec_b64 s[4:5], s[0:1]
	s_cbranch_execz .LBB0_19
; %bb.18:
	ds_write2_b64 v44, v[11:12], v[35:36] offset1:1
	ds_write2_b64 v44, v[37:38], v[33:34] offset0:2 offset1:3
	ds_write2_b64 v44, v[13:14], v[27:28] offset0:4 offset1:5
	;; [unrolled: 1-line block ×3, first 2 shown]
.LBB0_19:
	s_or_b64 exec, exec, s[4:5]
	s_waitcnt lgkmcnt(0)
	s_barrier
	s_and_saveexec_b64 s[4:5], s[0:1]
	s_cbranch_execz .LBB0_21
; %bb.20:
	v_add_u32_e32 v1, 0, v43
	v_or_b32_e32 v3, 0xe00, v43
	ds_read2st64_b32 v[11:12], v40 offset1:2
	ds_read2st64_b32 v[35:36], v40 offset0:4 offset1:6
	ds_read2st64_b32 v[37:38], v40 offset0:8 offset1:10
	;; [unrolled: 1-line block ×3, first 2 shown]
	v_add_u32_e32 v3, 0, v3
	ds_read2st64_b32 v[13:14], v40 offset0:16 offset1:18
	ds_read2st64_b32 v[27:28], v40 offset0:20 offset1:22
	;; [unrolled: 1-line block ×3, first 2 shown]
	v_or_b32_e32 v4, 0x1e00, v43
	v_add_u32_e32 v4, 0, v4
	ds_read_b32 v34, v3
	ds_read_b32 v32, v4
	s_waitcnt lgkmcnt(5)
	v_mov_b32_e32 v31, v2
	v_mov_b32_e32 v33, v1
.LBB0_21:
	s_or_b64 exec, exec, s[4:5]
	v_and_b32_e32 v41, 15, v0
	v_mul_u32_u24_e32 v1, 15, v41
	v_lshlrev_b32_e32 v58, 3, v1
	global_load_dwordx4 v[42:45], v58, s[8:9]
	global_load_dwordx4 v[46:49], v58, s[8:9] offset:16
	global_load_dwordx4 v[50:53], v58, s[8:9] offset:32
	;; [unrolled: 1-line block ×4, first 2 shown]
	s_waitcnt vmcnt(4)
	v_mul_f32_e32 v59, v12, v43
	v_mul_f32_e32 v43, v10, v43
	;; [unrolled: 1-line block ×4, first 2 shown]
	v_fmac_f32_e32 v59, v10, v42
	s_waitcnt vmcnt(3)
	v_mul_f32_e32 v10, v22, v47
	v_fma_f32 v61, v12, v42, -v43
	v_fmac_f32_e32 v60, v21, v44
	v_fma_f32 v35, v35, v44, -v45
	global_load_dwordx4 v[42:45], v58, s[8:9] offset:80
	v_mul_f32_e32 v62, v36, v47
	v_mul_f32_e32 v21, v37, v49
	v_fma_f32 v36, v36, v46, -v10
	v_mul_f32_e32 v10, v23, v49
	v_fmac_f32_e32 v62, v22, v46
	v_fmac_f32_e32 v21, v23, v48
	v_fma_f32 v10, v37, v48, -v10
	global_load_dwordx4 v[46:49], v58, s[8:9] offset:96
	global_load_dwordx2 v[22:23], v58, s[8:9] offset:112
	s_waitcnt vmcnt(5)
	v_mul_f32_e32 v37, v38, v51
	v_mul_f32_e32 v12, v24, v51
	v_fmac_f32_e32 v37, v24, v50
	v_fma_f32 v24, v38, v50, -v12
	v_mul_f32_e32 v38, v33, v53
	v_mul_f32_e32 v12, v25, v53
	v_fmac_f32_e32 v38, v25, v52
	v_fma_f32 v25, v33, v52, -v12
	s_waitcnt vmcnt(3) lgkmcnt(4)
	v_mul_f32_e32 v33, v14, v55
	v_mul_f32_e32 v12, v8, v55
	s_waitcnt lgkmcnt(3)
	v_mul_f32_e32 v50, v27, v57
	v_mul_f32_e32 v51, v15, v57
	v_fmac_f32_e32 v33, v8, v54
	v_fma_f32 v8, v14, v54, -v12
	v_fmac_f32_e32 v50, v15, v56
	v_fma_f32 v14, v27, v56, -v51
	s_waitcnt lgkmcnt(1)
	v_mul_f32_e32 v15, v34, v2
	v_mul_f32_e32 v2, v26, v2
	v_fmac_f32_e32 v15, v26, v1
	v_fma_f32 v2, v34, v1, -v2
	v_sub_f32_e32 v14, v35, v14
	v_sub_f32_e32 v8, v61, v8
	s_waitcnt vmcnt(0) lgkmcnt(0)
	s_barrier
	v_mul_f32_e32 v27, v28, v43
	v_mul_f32_e32 v12, v16, v43
	v_fmac_f32_e32 v27, v16, v42
	v_fma_f32 v28, v28, v42, -v12
	v_mul_f32_e32 v26, v29, v45
	v_mul_f32_e32 v43, v17, v45
	v_fmac_f32_e32 v26, v17, v44
	v_fma_f32 v17, v29, v44, -v43
	v_mul_f32_e32 v1, v30, v47
	v_mul_f32_e32 v16, v31, v49
	;; [unrolled: 1-line block ×5, first 2 shown]
	v_fmac_f32_e32 v1, v18, v46
	v_fmac_f32_e32 v16, v19, v48
	v_mul_f32_e32 v45, v19, v49
	v_fma_f32 v23, v30, v46, -v34
	v_fmac_f32_e32 v42, v20, v22
	v_fma_f32 v20, v32, v22, -v12
	v_sub_f32_e32 v16, v38, v16
	v_sub_f32_e32 v30, v37, v1
	v_fma_f32 v19, v31, v48, -v45
	v_sub_f32_e32 v31, v24, v23
	v_sub_f32_e32 v27, v62, v27
	;; [unrolled: 1-line block ×3, first 2 shown]
	v_fma_f32 v23, v38, 2.0, -v16
	v_fma_f32 v34, v37, 2.0, -v30
	v_sub_f32_e32 v37, v15, v42
	v_sub_f32_e32 v38, v2, v20
	;; [unrolled: 1-line block ×6, first 2 shown]
	v_fma_f32 v19, v35, 2.0, -v14
	v_fma_f32 v33, v61, 2.0, -v8
	;; [unrolled: 1-line block ×10, first 2 shown]
	v_sub_f32_e32 v44, v33, v24
	v_add_f32_e32 v31, v29, v31
	v_sub_f32_e32 v45, v8, v30
	v_sub_f32_e32 v15, v35, v15
	;; [unrolled: 1-line block ×6, first 2 shown]
	v_add_f32_e32 v22, v17, v22
	v_sub_f32_e32 v43, v32, v34
	v_fma_f32 v23, v33, 2.0, -v44
	v_fma_f32 v34, v29, 2.0, -v31
	;; [unrolled: 1-line block ×5, first 2 shown]
	v_add_f32_e32 v35, v27, v38
	v_sub_f32_e32 v37, v28, v37
	v_fma_f32 v17, v17, 2.0, -v22
	v_fma_f32 v27, v27, 2.0, -v35
	;; [unrolled: 1-line block ×3, first 2 shown]
	v_mul_f32_e32 v29, 0x3f3504f3, v22
	v_sub_f32_e32 v30, v23, v25
	v_mov_b32_e32 v22, v34
	v_mov_b32_e32 v25, v8
	v_sub_f32_e32 v16, v14, v16
	v_fmac_f32_e32 v22, 0xbf3504f3, v27
	v_fmac_f32_e32 v25, 0xbf3504f3, v28
	v_fma_f32 v14, v14, 2.0, -v16
	v_fmac_f32_e32 v22, 0x3f3504f3, v28
	v_fmac_f32_e32 v25, 0xbf3504f3, v27
	v_mov_b32_e32 v27, v31
	v_mov_b32_e32 v28, v45
	v_mul_f32_e32 v36, 0x3f3504f3, v14
	v_fma_f32 v38, v8, 2.0, -v25
	v_add_f32_e32 v8, v43, v42
	v_sub_f32_e32 v14, v44, v15
	v_fmac_f32_e32 v27, 0x3f3504f3, v35
	v_fmac_f32_e32 v28, 0x3f3504f3, v37
	v_fma_f32 v2, v32, 2.0, -v43
	v_mul_f32_e32 v32, 0x3f3504f3, v16
	v_fma_f32 v15, v43, 2.0, -v8
	v_fma_f32 v16, v44, 2.0, -v14
	v_fmac_f32_e32 v27, 0x3f3504f3, v37
	v_fmac_f32_e32 v28, 0xbf3504f3, v35
	v_mul_f32_e32 v33, 0x3f3504f3, v17
	v_sub_f32_e32 v24, v2, v24
	v_fma_f32 v34, v34, 2.0, -v22
	v_fma_f32 v42, v31, 2.0, -v27
	v_fma_f32 v43, v45, 2.0, -v28
	v_mul_f32_e32 v44, 0x3f3504f3, v15
	v_mul_f32_e32 v45, 0x3f3504f3, v16
	v_mul_f32_e32 v35, 0x3f3504f3, v8
	v_mul_f32_e32 v37, 0x3f3504f3, v14
	v_lshlrev_b32_e32 v31, 4, v0
	s_and_saveexec_b64 s[4:5], s[0:1]
	s_cbranch_execz .LBB0_23
; %bb.22:
	v_mul_f32_e32 v8, v13, v4
	v_fmac_f32_e32 v8, v7, v3
	v_sub_f32_e32 v8, v9, v8
	v_add_f32_e32 v14, v8, v18
	v_fma_f32 v9, v9, 2.0, -v8
	v_fma_f32 v8, v8, 2.0, -v14
	v_sub_f32_e32 v49, v8, v33
	v_add_f32_e32 v15, v14, v29
	v_fma_f32 v21, v21, 2.0, -v12
	v_add_f32_e32 v49, v36, v49
	v_add_f32_e32 v15, v32, v15
	v_sub_f32_e32 v21, v9, v21
	v_mov_b32_e32 v50, v49
	v_mov_b32_e32 v16, v15
	v_fmac_f32_e32 v50, 0x3ec3ef15, v22
	v_fma_f32 v9, v9, 2.0, -v21
	v_fma_f32 v1, v1, 2.0, -v20
	v_fmac_f32_e32 v16, 0x3f6c835e, v27
	v_add_f32_e32 v46, v21, v26
	v_fmac_f32_e32 v50, 0x3f6c835e, v25
	v_sub_f32_e32 v1, v9, v1
	v_fma_f32 v8, v8, 2.0, -v49
	v_fmac_f32_e32 v16, 0x3ec3ef15, v28
	v_add_f32_e32 v47, v46, v35
	v_fma_f32 v51, v49, 2.0, -v50
	v_add_f32_e32 v52, v1, v30
	v_fma_f32 v14, v14, 2.0, -v15
	v_mov_b32_e32 v49, v8
	v_fma_f32 v17, v15, 2.0, -v16
	v_add_f32_e32 v47, v37, v47
	v_fma_f32 v53, v1, 2.0, -v52
	v_mov_b32_e32 v15, v14
	v_fma_f32 v21, v21, 2.0, -v46
	v_fmac_f32_e32 v49, 0xbf6c835e, v34
	v_fma_f32 v1, v9, 2.0, -v1
	v_fma_f32 v2, v2, 2.0, -v24
	s_movk_i32 s6, 0x700
	v_fma_f32 v48, v46, 2.0, -v47
	v_fmac_f32_e32 v15, 0xbec3ef15, v42
	v_sub_f32_e32 v46, v21, v44
	v_fmac_f32_e32 v49, 0x3ec3ef15, v38
	v_sub_f32_e32 v2, v1, v2
	v_and_or_b32 v9, v31, s6, v41
	v_fmac_f32_e32 v15, 0x3f6c835e, v43
	v_add_f32_e32 v46, v45, v46
	v_fma_f32 v8, v8, 2.0, -v49
	v_fma_f32 v1, v1, 2.0, -v2
	v_lshl_add_u32 v9, v9, 2, 0
	v_fma_f32 v14, v14, 2.0, -v15
	v_fma_f32 v21, v21, 2.0, -v46
	ds_write2_b32 v9, v1, v8 offset1:16
	ds_write2_b32 v9, v21, v14 offset0:32 offset1:48
	ds_write2_b32 v9, v53, v51 offset0:64 offset1:80
	;; [unrolled: 1-line block ×7, first 2 shown]
.LBB0_23:
	s_or_b64 exec, exec, s[4:5]
	s_waitcnt lgkmcnt(0)
	s_barrier
	ds_read2st64_b32 v[1:2], v40 offset1:4
	ds_read2st64_b32 v[14:15], v40 offset0:8 offset1:12
	ds_read2st64_b32 v[8:9], v40 offset0:16 offset1:20
	;; [unrolled: 1-line block ×3, first 2 shown]
	s_waitcnt lgkmcnt(0)
	s_barrier
	s_and_saveexec_b64 s[4:5], s[0:1]
	s_cbranch_execz .LBB0_25
; %bb.24:
	v_mul_f32_e32 v4, v7, v4
	v_fma_f32 v3, v13, v3, -v4
	v_sub_f32_e32 v3, v11, v3
	v_fma_f32 v7, v10, 2.0, -v18
	v_sub_f32_e32 v10, v3, v12
	v_fma_f32 v4, v11, 2.0, -v3
	v_fma_f32 v3, v3, 2.0, -v10
	v_sub_f32_e32 v12, v3, v36
	v_sub_f32_e32 v7, v4, v7
	;; [unrolled: 1-line block ×3, first 2 shown]
	v_add_f32_e32 v18, v10, v32
	v_fma_f32 v4, v4, 2.0, -v7
	v_fma_f32 v11, v19, 2.0, -v26
	;; [unrolled: 1-line block ×3, first 2 shown]
	v_sub_f32_e32 v18, v18, v29
	v_mov_b32_e32 v26, v12
	v_sub_f32_e32 v11, v4, v11
	v_sub_f32_e32 v13, v7, v20
	v_fma_f32 v10, v10, 2.0, -v18
	v_mov_b32_e32 v20, v3
	v_fmac_f32_e32 v26, 0x3ec3ef15, v25
	v_mov_b32_e32 v25, v18
	v_fma_f32 v4, v4, 2.0, -v11
	v_fma_f32 v7, v7, 2.0, -v13
	;; [unrolled: 1-line block ×3, first 2 shown]
	v_fmac_f32_e32 v20, 0xbf6c835e, v38
	v_mov_b32_e32 v23, v10
	v_fmac_f32_e32 v25, 0x3f6c835e, v28
	s_movk_i32 s0, 0x700
	v_sub_f32_e32 v19, v4, v19
	v_fmac_f32_e32 v20, 0xbec3ef15, v34
	v_sub_f32_e32 v21, v7, v45
	v_fmac_f32_e32 v23, 0xbec3ef15, v43
	v_fmac_f32_e32 v26, 0xbf6c835e, v22
	v_add_f32_e32 v22, v13, v37
	v_fmac_f32_e32 v25, 0xbec3ef15, v27
	v_and_or_b32 v27, v31, s0, v41
	v_fma_f32 v4, v4, 2.0, -v19
	v_fma_f32 v3, v3, 2.0, -v20
	v_sub_f32_e32 v21, v21, v44
	v_fmac_f32_e32 v23, 0xbf6c835e, v42
	v_sub_f32_e32 v24, v11, v24
	v_sub_f32_e32 v22, v22, v35
	v_lshl_add_u32 v27, v27, 2, 0
	v_fma_f32 v7, v7, 2.0, -v21
	v_fma_f32 v10, v10, 2.0, -v23
	;; [unrolled: 1-line block ×6, first 2 shown]
	ds_write2_b32 v27, v4, v3 offset1:16
	ds_write2_b32 v27, v7, v10 offset0:32 offset1:48
	ds_write2_b32 v27, v11, v12 offset0:64 offset1:80
	ds_write2_b32 v27, v13, v18 offset0:96 offset1:112
	ds_write2_b32 v27, v19, v20 offset0:128 offset1:144
	ds_write2_b32 v27, v21, v23 offset0:160 offset1:176
	ds_write2_b32 v27, v24, v26 offset0:192 offset1:208
	ds_write2_b32 v27, v22, v25 offset0:224 offset1:240
.LBB0_25:
	s_or_b64 exec, exec, s[4:5]
	s_waitcnt lgkmcnt(0)
	s_barrier
	s_and_saveexec_b64 s[0:1], vcc
	s_cbranch_execz .LBB0_27
; %bb.26:
	v_mul_u32_u24_e32 v0, 7, v0
	v_lshlrev_b32_e32 v0, 3, v0
	global_load_dwordx4 v[10:13], v0, s[8:9] offset:1936
	global_load_dwordx4 v[18:21], v0, s[8:9] offset:1920
	;; [unrolled: 1-line block ×3, first 2 shown]
	global_load_dwordx2 v[3:4], v0, s[8:9] offset:1968
	ds_read2st64_b32 v[26:27], v40 offset1:4
	ds_read2st64_b32 v[28:29], v40 offset0:16 offset1:20
	ds_read2st64_b32 v[30:31], v40 offset0:8 offset1:12
	ds_read2st64_b32 v[32:33], v40 offset0:24 offset1:28
	v_mad_u64_u32 v[34:35], s[0:1], s2, v39, 0
	s_waitcnt vmcnt(3)
	v_mul_f32_e32 v0, v8, v13
	s_waitcnt vmcnt(2)
	v_mul_f32_e32 v7, v14, v20
	;; [unrolled: 2-line block ×3, first 2 shown]
	v_mul_f32_e32 v37, v2, v19
	v_mul_f32_e32 v38, v9, v23
	;; [unrolled: 1-line block ×3, first 2 shown]
	s_waitcnt vmcnt(0)
	v_mul_f32_e32 v41, v17, v3
	s_waitcnt lgkmcnt(3)
	v_mul_f32_e32 v19, v27, v19
	s_waitcnt lgkmcnt(2)
	v_mul_f32_e32 v23, v29, v23
	v_mul_f32_e32 v14, v14, v21
	;; [unrolled: 1-line block ×6, first 2 shown]
	v_fma_f32 v0, v28, v12, -v0
	s_waitcnt lgkmcnt(1)
	v_fmac_f32_e32 v40, v31, v11
	s_waitcnt lgkmcnt(0)
	v_fmac_f32_e32 v41, v33, v4
	v_fmac_f32_e32 v19, v2, v18
	;; [unrolled: 1-line block ×3, first 2 shown]
	v_fma_f32 v2, v30, v20, -v14
	v_fma_f32 v9, v32, v24, -v16
	v_fmac_f32_e32 v13, v8, v12
	v_fmac_f32_e32 v7, v30, v21
	;; [unrolled: 1-line block ×3, first 2 shown]
	v_fma_f32 v21, v27, v18, -v37
	v_fma_f32 v25, v29, v22, -v38
	;; [unrolled: 1-line block ×4, first 2 shown]
	v_sub_f32_e32 v8, v26, v0
	v_sub_f32_e32 v11, v40, v41
	;; [unrolled: 1-line block ×8, first 2 shown]
	v_add_f32_e32 v17, v13, v9
	v_fma_f32 v18, v26, 2.0, -v8
	v_fma_f32 v2, v2, 2.0, -v9
	;; [unrolled: 1-line block ×4, first 2 shown]
	v_sub_f32_e32 v14, v8, v0
	v_sub_f32_e32 v15, v10, v11
	v_add_f32_e32 v16, v12, v3
	v_fma_f32 v11, v1, 2.0, -v13
	v_fma_f32 v7, v7, 2.0, -v0
	;; [unrolled: 1-line block ×4, first 2 shown]
	v_mov_b32_e32 v0, v17
	v_sub_f32_e32 v4, v18, v2
	v_sub_f32_e32 v21, v22, v9
	;; [unrolled: 1-line block ×4, first 2 shown]
	v_fmac_f32_e32 v0, 0x3f3504f3, v16
	v_sub_f32_e32 v3, v4, v21
	v_fma_f32 v24, v10, 2.0, -v15
	v_add_f32_e32 v2, v20, v9
	v_fma_f32 v18, v18, 2.0, -v4
	v_fmac_f32_e32 v0, 0x3f3504f3, v15
	v_fma_f32 v10, v4, 2.0, -v3
	v_mov_b32_e32 v4, v35
	v_fma_f32 v25, v12, 2.0, -v16
	v_fma_f32 v26, v13, 2.0, -v17
	v_fma_f32 v12, v19, 2.0, -v9
	v_fma_f32 v9, v20, 2.0, -v2
	v_fma_f32 v13, v17, 2.0, -v0
	v_fma_f32 v17, v11, 2.0, -v20
	v_mad_u64_u32 v[19:20], s[0:1], s3, v39, v[4:5]
	v_fma_f32 v4, v22, 2.0, -v21
	v_or_b32_e32 v21, 0x100, v39
	v_fma_f32 v23, v8, 2.0, -v14
	v_mov_b32_e32 v35, v19
	v_mad_u64_u32 v[19:20], s[0:1], s2, v21, 0
	v_mov_b32_e32 v8, v23
	v_sub_f32_e32 v11, v17, v4
	v_lshlrev_b64 v[4:5], 3, v[5:6]
	v_mov_b32_e32 v1, v14
	v_mov_b32_e32 v7, v26
	v_fmac_f32_e32 v8, 0xbf3504f3, v24
	v_fmac_f32_e32 v1, 0x3f3504f3, v15
	;; [unrolled: 1-line block ×4, first 2 shown]
	v_mov_b32_e32 v6, s13
	v_add_co_u32_e32 v22, vcc, s12, v4
	v_fmac_f32_e32 v1, 0xbf3504f3, v16
	v_fmac_f32_e32 v7, 0x3f3504f3, v24
	v_fma_f32 v16, v23, 2.0, -v8
	v_addc_co_u32_e32 v23, vcc, v6, v5, vcc
	v_mov_b32_e32 v6, v20
	v_lshlrev_b64 v[4:5], 3, v[34:35]
	v_mad_u64_u32 v[20:21], s[0:1], s3, v21, v[6:7]
	v_sub_f32_e32 v12, v18, v12
	v_add_co_u32_e32 v4, vcc, v22, v4
	v_fma_f32 v18, v18, 2.0, -v12
	v_fma_f32 v17, v17, 2.0, -v11
	v_addc_co_u32_e32 v5, vcc, v23, v5, vcc
	global_store_dwordx2 v[4:5], v[17:18], off
	v_lshlrev_b64 v[4:5], 3, v[19:20]
	v_or_b32_e32 v19, 0x200, v39
	v_mad_u64_u32 v[17:18], s[0:1], s2, v19, 0
	v_or_b32_e32 v21, 0x300, v39
	v_add_co_u32_e32 v4, vcc, v22, v4
	v_mov_b32_e32 v6, v18
	v_mad_u64_u32 v[18:19], s[0:1], s3, v19, v[6:7]
	v_mad_u64_u32 v[19:20], s[0:1], s2, v21, 0
	v_fma_f32 v15, v26, 2.0, -v7
	v_addc_co_u32_e32 v5, vcc, v23, v5, vcc
	v_mov_b32_e32 v6, v20
	global_store_dwordx2 v[4:5], v[15:16], off
	v_mad_u64_u32 v[15:16], s[0:1], s3, v21, v[6:7]
	v_lshlrev_b64 v[4:5], 3, v[17:18]
	v_or_b32_e32 v18, 0x500, v39
	v_add_co_u32_e32 v4, vcc, v22, v4
	v_addc_co_u32_e32 v5, vcc, v23, v5, vcc
	v_mov_b32_e32 v20, v15
	v_or_b32_e32 v15, 0x400, v39
	global_store_dwordx2 v[4:5], v[9:10], off
	v_mad_u64_u32 v[9:10], s[0:1], s2, v15, 0
	v_lshlrev_b64 v[4:5], 3, v[19:20]
	v_fma_f32 v14, v14, 2.0, -v1
	v_mov_b32_e32 v6, v10
	v_mad_u64_u32 v[15:16], s[0:1], s3, v15, v[6:7]
	v_mad_u64_u32 v[16:17], s[0:1], s2, v18, 0
	v_add_co_u32_e32 v4, vcc, v22, v4
	v_addc_co_u32_e32 v5, vcc, v23, v5, vcc
	v_mov_b32_e32 v10, v15
	global_store_dwordx2 v[4:5], v[13:14], off
	v_lshlrev_b64 v[4:5], 3, v[9:10]
	v_mov_b32_e32 v6, v17
	v_mad_u64_u32 v[9:10], s[0:1], s3, v18, v[6:7]
	v_add_co_u32_e32 v4, vcc, v22, v4
	v_addc_co_u32_e32 v5, vcc, v23, v5, vcc
	global_store_dwordx2 v[4:5], v[11:12], off
	v_or_b32_e32 v11, 0x600, v39
	v_mov_b32_e32 v17, v9
	v_mad_u64_u32 v[9:10], s[0:1], s2, v11, 0
	v_or_b32_e32 v13, 0x700, v39
	v_lshlrev_b64 v[4:5], 3, v[16:17]
	v_mov_b32_e32 v6, v10
	v_mad_u64_u32 v[10:11], s[0:1], s3, v11, v[6:7]
	v_mad_u64_u32 v[11:12], s[0:1], s2, v13, 0
	v_add_co_u32_e32 v4, vcc, v22, v4
	v_addc_co_u32_e32 v5, vcc, v23, v5, vcc
	v_mov_b32_e32 v6, v12
	global_store_dwordx2 v[4:5], v[7:8], off
	v_mad_u64_u32 v[6:7], s[0:1], s3, v13, v[6:7]
	v_lshlrev_b64 v[4:5], 3, v[9:10]
	v_add_co_u32_e32 v4, vcc, v22, v4
	v_addc_co_u32_e32 v5, vcc, v23, v5, vcc
	v_mov_b32_e32 v12, v6
	global_store_dwordx2 v[4:5], v[2:3], off
	v_lshlrev_b64 v[2:3], 3, v[11:12]
	v_add_co_u32_e32 v2, vcc, v22, v2
	v_addc_co_u32_e32 v3, vcc, v23, v3, vcc
	global_store_dwordx2 v[2:3], v[0:1], off
.LBB0_27:
	s_endpgm
	.section	.rodata,"a",@progbits
	.p2align	6, 0x0
	.amdhsa_kernel fft_rtc_back_len2048_factors_16_16_8_wgs_256_tpt_256_halfLds_sp_ip_CI_sbrr_dirReg
		.amdhsa_group_segment_fixed_size 0
		.amdhsa_private_segment_fixed_size 0
		.amdhsa_kernarg_size 88
		.amdhsa_user_sgpr_count 6
		.amdhsa_user_sgpr_private_segment_buffer 1
		.amdhsa_user_sgpr_dispatch_ptr 0
		.amdhsa_user_sgpr_queue_ptr 0
		.amdhsa_user_sgpr_kernarg_segment_ptr 1
		.amdhsa_user_sgpr_dispatch_id 0
		.amdhsa_user_sgpr_flat_scratch_init 0
		.amdhsa_user_sgpr_private_segment_size 0
		.amdhsa_uses_dynamic_stack 0
		.amdhsa_system_sgpr_private_segment_wavefront_offset 0
		.amdhsa_system_sgpr_workgroup_id_x 1
		.amdhsa_system_sgpr_workgroup_id_y 0
		.amdhsa_system_sgpr_workgroup_id_z 0
		.amdhsa_system_sgpr_workgroup_info 0
		.amdhsa_system_vgpr_workitem_id 0
		.amdhsa_next_free_vgpr 64
		.amdhsa_next_free_sgpr 24
		.amdhsa_reserve_vcc 1
		.amdhsa_reserve_flat_scratch 0
		.amdhsa_float_round_mode_32 0
		.amdhsa_float_round_mode_16_64 0
		.amdhsa_float_denorm_mode_32 3
		.amdhsa_float_denorm_mode_16_64 3
		.amdhsa_dx10_clamp 1
		.amdhsa_ieee_mode 1
		.amdhsa_fp16_overflow 0
		.amdhsa_exception_fp_ieee_invalid_op 0
		.amdhsa_exception_fp_denorm_src 0
		.amdhsa_exception_fp_ieee_div_zero 0
		.amdhsa_exception_fp_ieee_overflow 0
		.amdhsa_exception_fp_ieee_underflow 0
		.amdhsa_exception_fp_ieee_inexact 0
		.amdhsa_exception_int_div_zero 0
	.end_amdhsa_kernel
	.text
.Lfunc_end0:
	.size	fft_rtc_back_len2048_factors_16_16_8_wgs_256_tpt_256_halfLds_sp_ip_CI_sbrr_dirReg, .Lfunc_end0-fft_rtc_back_len2048_factors_16_16_8_wgs_256_tpt_256_halfLds_sp_ip_CI_sbrr_dirReg
                                        ; -- End function
	.section	.AMDGPU.csdata,"",@progbits
; Kernel info:
; codeLenInByte = 6564
; NumSgprs: 28
; NumVgprs: 64
; ScratchSize: 0
; MemoryBound: 0
; FloatMode: 240
; IeeeMode: 1
; LDSByteSize: 0 bytes/workgroup (compile time only)
; SGPRBlocks: 3
; VGPRBlocks: 15
; NumSGPRsForWavesPerEU: 28
; NumVGPRsForWavesPerEU: 64
; Occupancy: 4
; WaveLimiterHint : 1
; COMPUTE_PGM_RSRC2:SCRATCH_EN: 0
; COMPUTE_PGM_RSRC2:USER_SGPR: 6
; COMPUTE_PGM_RSRC2:TRAP_HANDLER: 0
; COMPUTE_PGM_RSRC2:TGID_X_EN: 1
; COMPUTE_PGM_RSRC2:TGID_Y_EN: 0
; COMPUTE_PGM_RSRC2:TGID_Z_EN: 0
; COMPUTE_PGM_RSRC2:TIDIG_COMP_CNT: 0
	.type	__hip_cuid_579d2440596c007d,@object ; @__hip_cuid_579d2440596c007d
	.section	.bss,"aw",@nobits
	.globl	__hip_cuid_579d2440596c007d
__hip_cuid_579d2440596c007d:
	.byte	0                               ; 0x0
	.size	__hip_cuid_579d2440596c007d, 1

	.ident	"AMD clang version 19.0.0git (https://github.com/RadeonOpenCompute/llvm-project roc-6.4.0 25133 c7fe45cf4b819c5991fe208aaa96edf142730f1d)"
	.section	".note.GNU-stack","",@progbits
	.addrsig
	.addrsig_sym __hip_cuid_579d2440596c007d
	.amdgpu_metadata
---
amdhsa.kernels:
  - .args:
      - .actual_access:  read_only
        .address_space:  global
        .offset:         0
        .size:           8
        .value_kind:     global_buffer
      - .offset:         8
        .size:           8
        .value_kind:     by_value
      - .actual_access:  read_only
        .address_space:  global
        .offset:         16
        .size:           8
        .value_kind:     global_buffer
      - .actual_access:  read_only
        .address_space:  global
        .offset:         24
        .size:           8
        .value_kind:     global_buffer
      - .offset:         32
        .size:           8
        .value_kind:     by_value
      - .actual_access:  read_only
        .address_space:  global
        .offset:         40
        .size:           8
        .value_kind:     global_buffer
      - .actual_access:  read_only
        .address_space:  global
        .offset:         48
        .size:           8
        .value_kind:     global_buffer
      - .offset:         56
        .size:           4
        .value_kind:     by_value
      - .actual_access:  read_only
        .address_space:  global
        .offset:         64
        .size:           8
        .value_kind:     global_buffer
      - .actual_access:  read_only
        .address_space:  global
        .offset:         72
        .size:           8
        .value_kind:     global_buffer
      - .address_space:  global
        .offset:         80
        .size:           8
        .value_kind:     global_buffer
    .group_segment_fixed_size: 0
    .kernarg_segment_align: 8
    .kernarg_segment_size: 88
    .language:       OpenCL C
    .language_version:
      - 2
      - 0
    .max_flat_workgroup_size: 256
    .name:           fft_rtc_back_len2048_factors_16_16_8_wgs_256_tpt_256_halfLds_sp_ip_CI_sbrr_dirReg
    .private_segment_fixed_size: 0
    .sgpr_count:     28
    .sgpr_spill_count: 0
    .symbol:         fft_rtc_back_len2048_factors_16_16_8_wgs_256_tpt_256_halfLds_sp_ip_CI_sbrr_dirReg.kd
    .uniform_work_group_size: 1
    .uses_dynamic_stack: false
    .vgpr_count:     64
    .vgpr_spill_count: 0
    .wavefront_size: 64
amdhsa.target:   amdgcn-amd-amdhsa--gfx906
amdhsa.version:
  - 1
  - 2
...

	.end_amdgpu_metadata
